;; amdgpu-corpus repo=ROCm/rocFFT kind=compiled arch=gfx1030 opt=O3
	.text
	.amdgcn_target "amdgcn-amd-amdhsa--gfx1030"
	.amdhsa_code_object_version 6
	.protected	fft_rtc_fwd_len672_factors_2_2_2_2_2_3_7_wgs_56_tpt_56_halfLds_dp_op_CI_CI_unitstride_sbrr_R2C_dirReg ; -- Begin function fft_rtc_fwd_len672_factors_2_2_2_2_2_3_7_wgs_56_tpt_56_halfLds_dp_op_CI_CI_unitstride_sbrr_R2C_dirReg
	.globl	fft_rtc_fwd_len672_factors_2_2_2_2_2_3_7_wgs_56_tpt_56_halfLds_dp_op_CI_CI_unitstride_sbrr_R2C_dirReg
	.p2align	8
	.type	fft_rtc_fwd_len672_factors_2_2_2_2_2_3_7_wgs_56_tpt_56_halfLds_dp_op_CI_CI_unitstride_sbrr_R2C_dirReg,@function
fft_rtc_fwd_len672_factors_2_2_2_2_2_3_7_wgs_56_tpt_56_halfLds_dp_op_CI_CI_unitstride_sbrr_R2C_dirReg: ; @fft_rtc_fwd_len672_factors_2_2_2_2_2_3_7_wgs_56_tpt_56_halfLds_dp_op_CI_CI_unitstride_sbrr_R2C_dirReg
; %bb.0:
	s_clause 0x2
	s_load_dwordx4 s[12:15], s[4:5], 0x0
	s_load_dwordx4 s[8:11], s[4:5], 0x58
	;; [unrolled: 1-line block ×3, first 2 shown]
	v_mul_u32_u24_e32 v1, 0x493, v0
	v_mov_b32_e32 v3, 0
	v_add_nc_u32_sdwa v5, s6, v1 dst_sel:DWORD dst_unused:UNUSED_PAD src0_sel:DWORD src1_sel:WORD_1
	v_mov_b32_e32 v1, 0
	v_mov_b32_e32 v6, v3
	v_mov_b32_e32 v2, 0
	s_waitcnt lgkmcnt(0)
	v_cmp_lt_u64_e64 s0, s[14:15], 2
	s_and_b32 vcc_lo, exec_lo, s0
	s_cbranch_vccnz .LBB0_8
; %bb.1:
	s_load_dwordx2 s[0:1], s[4:5], 0x10
	v_mov_b32_e32 v1, 0
	v_mov_b32_e32 v2, 0
	s_add_u32 s2, s18, 8
	s_addc_u32 s3, s19, 0
	s_add_u32 s6, s16, 8
	s_addc_u32 s7, s17, 0
	v_mov_b32_e32 v57, v2
	v_mov_b32_e32 v56, v1
	s_mov_b64 s[22:23], 1
	s_waitcnt lgkmcnt(0)
	s_add_u32 s20, s0, 8
	s_addc_u32 s21, s1, 0
.LBB0_2:                                ; =>This Inner Loop Header: Depth=1
	s_load_dwordx2 s[24:25], s[20:21], 0x0
                                        ; implicit-def: $vgpr60_vgpr61
	s_mov_b32 s0, exec_lo
	s_waitcnt lgkmcnt(0)
	v_or_b32_e32 v4, s25, v6
	v_cmpx_ne_u64_e32 0, v[3:4]
	s_xor_b32 s1, exec_lo, s0
	s_cbranch_execz .LBB0_4
; %bb.3:                                ;   in Loop: Header=BB0_2 Depth=1
	v_cvt_f32_u32_e32 v4, s24
	v_cvt_f32_u32_e32 v7, s25
	s_sub_u32 s0, 0, s24
	s_subb_u32 s26, 0, s25
	v_fmac_f32_e32 v4, 0x4f800000, v7
	v_rcp_f32_e32 v4, v4
	v_mul_f32_e32 v4, 0x5f7ffffc, v4
	v_mul_f32_e32 v7, 0x2f800000, v4
	v_trunc_f32_e32 v7, v7
	v_fmac_f32_e32 v4, 0xcf800000, v7
	v_cvt_u32_f32_e32 v7, v7
	v_cvt_u32_f32_e32 v4, v4
	v_mul_lo_u32 v8, s0, v7
	v_mul_hi_u32 v9, s0, v4
	v_mul_lo_u32 v10, s26, v4
	v_add_nc_u32_e32 v8, v9, v8
	v_mul_lo_u32 v9, s0, v4
	v_add_nc_u32_e32 v8, v8, v10
	v_mul_hi_u32 v10, v4, v9
	v_mul_lo_u32 v11, v4, v8
	v_mul_hi_u32 v12, v4, v8
	v_mul_hi_u32 v13, v7, v9
	v_mul_lo_u32 v9, v7, v9
	v_mul_hi_u32 v14, v7, v8
	v_mul_lo_u32 v8, v7, v8
	v_add_co_u32 v10, vcc_lo, v10, v11
	v_add_co_ci_u32_e32 v11, vcc_lo, 0, v12, vcc_lo
	v_add_co_u32 v9, vcc_lo, v10, v9
	v_add_co_ci_u32_e32 v9, vcc_lo, v11, v13, vcc_lo
	v_add_co_ci_u32_e32 v10, vcc_lo, 0, v14, vcc_lo
	v_add_co_u32 v8, vcc_lo, v9, v8
	v_add_co_ci_u32_e32 v9, vcc_lo, 0, v10, vcc_lo
	v_add_co_u32 v4, vcc_lo, v4, v8
	v_add_co_ci_u32_e32 v7, vcc_lo, v7, v9, vcc_lo
	v_mul_hi_u32 v8, s0, v4
	v_mul_lo_u32 v10, s26, v4
	v_mul_lo_u32 v9, s0, v7
	v_add_nc_u32_e32 v8, v8, v9
	v_mul_lo_u32 v9, s0, v4
	v_add_nc_u32_e32 v8, v8, v10
	v_mul_hi_u32 v10, v4, v9
	v_mul_lo_u32 v11, v4, v8
	v_mul_hi_u32 v12, v4, v8
	v_mul_hi_u32 v13, v7, v9
	v_mul_lo_u32 v9, v7, v9
	v_mul_hi_u32 v14, v7, v8
	v_mul_lo_u32 v8, v7, v8
	v_add_co_u32 v10, vcc_lo, v10, v11
	v_add_co_ci_u32_e32 v11, vcc_lo, 0, v12, vcc_lo
	v_add_co_u32 v9, vcc_lo, v10, v9
	v_add_co_ci_u32_e32 v9, vcc_lo, v11, v13, vcc_lo
	v_add_co_ci_u32_e32 v10, vcc_lo, 0, v14, vcc_lo
	v_add_co_u32 v8, vcc_lo, v9, v8
	v_add_co_ci_u32_e32 v9, vcc_lo, 0, v10, vcc_lo
	v_add_co_u32 v4, vcc_lo, v4, v8
	v_add_co_ci_u32_e32 v11, vcc_lo, v7, v9, vcc_lo
	v_mul_hi_u32 v13, v5, v4
	v_mad_u64_u32 v[9:10], null, v6, v4, 0
	v_mad_u64_u32 v[7:8], null, v5, v11, 0
	;; [unrolled: 1-line block ×3, first 2 shown]
	v_add_co_u32 v4, vcc_lo, v13, v7
	v_add_co_ci_u32_e32 v7, vcc_lo, 0, v8, vcc_lo
	v_add_co_u32 v4, vcc_lo, v4, v9
	v_add_co_ci_u32_e32 v4, vcc_lo, v7, v10, vcc_lo
	v_add_co_ci_u32_e32 v7, vcc_lo, 0, v12, vcc_lo
	v_add_co_u32 v4, vcc_lo, v4, v11
	v_add_co_ci_u32_e32 v9, vcc_lo, 0, v7, vcc_lo
	v_mul_lo_u32 v10, s25, v4
	v_mad_u64_u32 v[7:8], null, s24, v4, 0
	v_mul_lo_u32 v11, s24, v9
	v_sub_co_u32 v7, vcc_lo, v5, v7
	v_add3_u32 v8, v8, v11, v10
	v_sub_nc_u32_e32 v10, v6, v8
	v_subrev_co_ci_u32_e64 v10, s0, s25, v10, vcc_lo
	v_add_co_u32 v11, s0, v4, 2
	v_add_co_ci_u32_e64 v12, s0, 0, v9, s0
	v_sub_co_u32 v13, s0, v7, s24
	v_sub_co_ci_u32_e32 v8, vcc_lo, v6, v8, vcc_lo
	v_subrev_co_ci_u32_e64 v10, s0, 0, v10, s0
	v_cmp_le_u32_e32 vcc_lo, s24, v13
	v_cmp_eq_u32_e64 s0, s25, v8
	v_cndmask_b32_e64 v13, 0, -1, vcc_lo
	v_cmp_le_u32_e32 vcc_lo, s25, v10
	v_cndmask_b32_e64 v14, 0, -1, vcc_lo
	v_cmp_le_u32_e32 vcc_lo, s24, v7
	;; [unrolled: 2-line block ×3, first 2 shown]
	v_cndmask_b32_e64 v15, 0, -1, vcc_lo
	v_cmp_eq_u32_e32 vcc_lo, s25, v10
	v_cndmask_b32_e64 v7, v15, v7, s0
	v_cndmask_b32_e32 v10, v14, v13, vcc_lo
	v_add_co_u32 v13, vcc_lo, v4, 1
	v_add_co_ci_u32_e32 v14, vcc_lo, 0, v9, vcc_lo
	v_cmp_ne_u32_e32 vcc_lo, 0, v10
	v_cndmask_b32_e32 v8, v14, v12, vcc_lo
	v_cndmask_b32_e32 v10, v13, v11, vcc_lo
	v_cmp_ne_u32_e32 vcc_lo, 0, v7
	v_cndmask_b32_e32 v61, v9, v8, vcc_lo
	v_cndmask_b32_e32 v60, v4, v10, vcc_lo
.LBB0_4:                                ;   in Loop: Header=BB0_2 Depth=1
	s_andn2_saveexec_b32 s0, s1
	s_cbranch_execz .LBB0_6
; %bb.5:                                ;   in Loop: Header=BB0_2 Depth=1
	v_cvt_f32_u32_e32 v4, s24
	s_sub_i32 s1, 0, s24
	v_mov_b32_e32 v61, v3
	v_rcp_iflag_f32_e32 v4, v4
	v_mul_f32_e32 v4, 0x4f7ffffe, v4
	v_cvt_u32_f32_e32 v4, v4
	v_mul_lo_u32 v7, s1, v4
	v_mul_hi_u32 v7, v4, v7
	v_add_nc_u32_e32 v4, v4, v7
	v_mul_hi_u32 v4, v5, v4
	v_mul_lo_u32 v7, v4, s24
	v_add_nc_u32_e32 v8, 1, v4
	v_sub_nc_u32_e32 v7, v5, v7
	v_subrev_nc_u32_e32 v9, s24, v7
	v_cmp_le_u32_e32 vcc_lo, s24, v7
	v_cndmask_b32_e32 v7, v7, v9, vcc_lo
	v_cndmask_b32_e32 v4, v4, v8, vcc_lo
	v_cmp_le_u32_e32 vcc_lo, s24, v7
	v_add_nc_u32_e32 v8, 1, v4
	v_cndmask_b32_e32 v60, v4, v8, vcc_lo
.LBB0_6:                                ;   in Loop: Header=BB0_2 Depth=1
	s_or_b32 exec_lo, exec_lo, s0
	v_mul_lo_u32 v4, v61, s24
	v_mul_lo_u32 v9, v60, s25
	s_load_dwordx2 s[0:1], s[6:7], 0x0
	v_mad_u64_u32 v[7:8], null, v60, s24, 0
	s_load_dwordx2 s[24:25], s[2:3], 0x0
	s_add_u32 s22, s22, 1
	s_addc_u32 s23, s23, 0
	s_add_u32 s2, s2, 8
	s_addc_u32 s3, s3, 0
	s_add_u32 s6, s6, 8
	v_add3_u32 v4, v8, v9, v4
	v_sub_co_u32 v5, vcc_lo, v5, v7
	s_addc_u32 s7, s7, 0
	s_add_u32 s20, s20, 8
	v_sub_co_ci_u32_e32 v4, vcc_lo, v6, v4, vcc_lo
	s_addc_u32 s21, s21, 0
	s_waitcnt lgkmcnt(0)
	v_mul_lo_u32 v6, s0, v4
	v_mul_lo_u32 v7, s1, v5
	v_mad_u64_u32 v[1:2], null, s0, v5, v[1:2]
	v_mul_lo_u32 v4, s24, v4
	v_mul_lo_u32 v8, s25, v5
	v_mad_u64_u32 v[56:57], null, s24, v5, v[56:57]
	v_cmp_ge_u64_e64 s0, s[22:23], s[14:15]
	v_add3_u32 v2, v7, v2, v6
	v_add3_u32 v57, v8, v57, v4
	s_and_b32 vcc_lo, exec_lo, s0
	s_cbranch_vccnz .LBB0_9
; %bb.7:                                ;   in Loop: Header=BB0_2 Depth=1
	v_mov_b32_e32 v5, v60
	v_mov_b32_e32 v6, v61
	s_branch .LBB0_2
.LBB0_8:
	v_mov_b32_e32 v57, v2
	v_mov_b32_e32 v61, v6
	;; [unrolled: 1-line block ×4, first 2 shown]
.LBB0_9:
	s_load_dwordx2 s[0:1], s[4:5], 0x28
	v_mul_hi_u32 v3, 0x4924925, v0
	s_lshl_b64 s[4:5], s[14:15], 3
                                        ; implicit-def: $vgpr58
                                        ; implicit-def: $vgpr62
                                        ; implicit-def: $vgpr67
                                        ; implicit-def: $vgpr66
                                        ; implicit-def: $vgpr65
                                        ; implicit-def: $vgpr64
	s_add_u32 s2, s18, s4
	s_addc_u32 s3, s19, s5
	s_waitcnt lgkmcnt(0)
	v_cmp_gt_u64_e32 vcc_lo, s[0:1], v[60:61]
	v_cmp_le_u64_e64 s0, s[0:1], v[60:61]
	s_and_saveexec_b32 s1, s0
	s_xor_b32 s0, exec_lo, s1
; %bb.10:
	v_mul_u32_u24_e32 v1, 56, v3
                                        ; implicit-def: $vgpr3
	v_sub_nc_u32_e32 v58, v0, v1
                                        ; implicit-def: $vgpr0
                                        ; implicit-def: $vgpr1_vgpr2
	v_add_nc_u32_e32 v62, 56, v58
	v_add_nc_u32_e32 v67, 0x70, v58
	;; [unrolled: 1-line block ×5, first 2 shown]
; %bb.11:
	s_andn2_saveexec_b32 s1, s0
	s_cbranch_execz .LBB0_13
; %bb.12:
	s_add_u32 s4, s16, s4
	s_addc_u32 s5, s17, s5
	v_lshlrev_b64 v[1:2], 4, v[1:2]
	s_load_dwordx2 s[4:5], s[4:5], 0x0
	s_waitcnt lgkmcnt(0)
	v_mul_lo_u32 v6, s5, v60
	v_mul_lo_u32 v7, s4, v61
	v_mad_u64_u32 v[4:5], null, s4, v60, 0
	v_add3_u32 v5, v5, v7, v6
	v_mul_u32_u24_e32 v6, 56, v3
	v_lshlrev_b64 v[3:4], 4, v[4:5]
	v_sub_nc_u32_e32 v58, v0, v6
	v_lshlrev_b32_e32 v48, 4, v58
	v_add_co_u32 v0, s0, s8, v3
	v_add_co_ci_u32_e64 v3, s0, s9, v4, s0
	v_add_nc_u32_e32 v62, 56, v58
	v_add_co_u32 v0, s0, v0, v1
	v_add_co_ci_u32_e64 v1, s0, v3, v2, s0
	v_or_b32_e32 v2, 0x1c00, v48
	v_add_co_u32 v16, s0, v0, v48
	v_add_co_ci_u32_e64 v17, s0, 0, v1, s0
	v_add_co_u32 v12, s0, v0, v2
	v_add_co_ci_u32_e64 v13, s0, 0, v1, s0
	;; [unrolled: 2-line block ×6, first 2 shown]
	s_clause 0xb
	global_load_dwordx4 v[0:3], v[16:17], off
	global_load_dwordx4 v[4:7], v[16:17], off offset:896
	global_load_dwordx4 v[8:11], v[16:17], off offset:1792
	global_load_dwordx4 v[12:15], v[12:13], off
	global_load_dwordx4 v[16:19], v[20:21], off offset:640
	global_load_dwordx4 v[20:23], v[20:21], off offset:1536
	;; [unrolled: 1-line block ×8, first 2 shown]
	v_add_nc_u32_e32 v48, 0, v48
	v_add_nc_u32_e32 v67, 0x70, v58
	v_add_nc_u32_e32 v66, 0xa8, v58
	v_add_nc_u32_e32 v65, 0xe0, v58
	v_add_nc_u32_e32 v64, 0x118, v58
	s_waitcnt vmcnt(11)
	ds_write_b128 v48, v[0:3]
	s_waitcnt vmcnt(10)
	ds_write_b128 v48, v[4:7] offset:896
	s_waitcnt vmcnt(9)
	ds_write_b128 v48, v[8:11] offset:1792
	;; [unrolled: 2-line block ×11, first 2 shown]
.LBB0_13:
	s_or_b32 exec_lo, exec_lo, s1
	v_lshlrev_b32_e32 v59, 4, v58
	s_load_dwordx2 s[2:3], s[2:3], 0x0
	s_waitcnt lgkmcnt(0)
	s_barrier
	buffer_gl0_inv
	v_add_nc_u32_e32 v69, 0, v59
	v_and_b32_e32 v94, 1, v58
	v_lshl_add_u32 v20, v62, 5, 0
	v_lshl_add_u32 v70, v67, 5, 0
	v_lshl_add_u32 v73, v66, 5, 0
	ds_read_b128 v[0:3], v69 offset:5376
	ds_read_b128 v[4:7], v69
	ds_read_b128 v[8:11], v69 offset:896
	ds_read_b128 v[12:15], v69 offset:6272
	;; [unrolled: 1-line block ×10, first 2 shown]
	v_add_nc_u32_e32 v49, v69, v59
	v_lshlrev_b32_e32 v50, 4, v94
	v_lshl_add_u32 v72, v65, 5, 0
	v_lshl_add_u32 v71, v64, 5, 0
	s_waitcnt lgkmcnt(0)
	s_barrier
	buffer_gl0_inv
	v_lshlrev_b32_e32 v63, 4, v67
	v_lshlrev_b32_e32 v68, 4, v66
	v_add_f64 v[0:1], v[4:5], -v[0:1]
	v_add_f64 v[2:3], v[6:7], -v[2:3]
	;; [unrolled: 1-line block ×12, first 2 shown]
	v_lshlrev_b32_e32 v74, 4, v65
	v_lshlrev_b32_e32 v75, 4, v64
	v_and_b32_e32 v102, 7, v58
	v_and_b32_e32 v113, 15, v58
	;; [unrolled: 1-line block ×5, first 2 shown]
	s_mov_b32 s0, 0xe8584caa
	s_mov_b32 s1, 0x3febb67a
	;; [unrolled: 1-line block ×3, first 2 shown]
	v_fma_f64 v[4:5], v[4:5], 2.0, -v[0:1]
	v_fma_f64 v[6:7], v[6:7], 2.0, -v[2:3]
	;; [unrolled: 1-line block ×12, first 2 shown]
	s_mov_b32 s4, s0
	ds_write_b128 v49, v[0:3] offset:16
	ds_write_b128 v20, v[12:15] offset:16
	;; [unrolled: 1-line block ×6, first 2 shown]
	ds_write_b128 v49, v[4:7]
	ds_write_b128 v20, v[8:11]
	;; [unrolled: 1-line block ×6, first 2 shown]
	s_waitcnt lgkmcnt(0)
	s_barrier
	buffer_gl0_inv
	global_load_dwordx4 v[4:7], v50, s[12:13]
	ds_read_b128 v[11:14], v69 offset:5376
	ds_read_b128 v[15:18], v69 offset:6272
	;; [unrolled: 1-line block ×6, first 2 shown]
	v_lshlrev_b32_e32 v21, 4, v62
	v_sub_nc_u32_e32 v1, v70, v63
	v_sub_nc_u32_e32 v2, v73, v68
	;; [unrolled: 1-line block ×5, first 2 shown]
	ds_read_b128 v[38:41], v69
	ds_read_b128 v[42:45], v0
	;; [unrolled: 1-line block ×4, first 2 shown]
	v_and_b32_e32 v19, 3, v58
	v_sub_nc_u32_e32 v21, 0, v21
	s_waitcnt vmcnt(0) lgkmcnt(9)
	v_mul_f64 v[8:9], v[13:14], v[6:7]
	v_mul_f64 v[54:55], v[11:12], v[6:7]
	s_waitcnt lgkmcnt(8)
	v_mul_f64 v[76:77], v[17:18], v[6:7]
	v_mul_f64 v[78:79], v[15:16], v[6:7]
	s_waitcnt lgkmcnt(7)
	v_mul_f64 v[80:81], v[24:25], v[6:7]
	v_mul_f64 v[82:83], v[22:23], v[6:7]
	s_waitcnt lgkmcnt(6)
	v_mul_f64 v[84:85], v[28:29], v[6:7]
	v_mul_f64 v[86:87], v[26:27], v[6:7]
	s_waitcnt lgkmcnt(5)
	v_mul_f64 v[88:89], v[32:33], v[6:7]
	v_mul_f64 v[90:91], v[30:31], v[6:7]
	s_waitcnt lgkmcnt(4)
	v_mul_f64 v[92:93], v[36:37], v[6:7]
	v_mul_f64 v[6:7], v[34:35], v[6:7]
	v_fma_f64 v[8:9], v[11:12], v[4:5], -v[8:9]
	v_fma_f64 v[54:55], v[13:14], v[4:5], v[54:55]
	v_fma_f64 v[76:77], v[15:16], v[4:5], -v[76:77]
	v_fma_f64 v[78:79], v[17:18], v[4:5], v[78:79]
	;; [unrolled: 2-line block ×5, first 2 shown]
	v_fma_f64 v[92:93], v[34:35], v[4:5], -v[92:93]
	ds_read_b128 v[11:14], v3
	ds_read_b128 v[15:18], v10
	v_fma_f64 v[6:7], v[36:37], v[4:5], v[6:7]
	v_lshlrev_b32_e32 v4, 1, v58
	v_lshlrev_b32_e32 v5, 1, v62
	s_waitcnt lgkmcnt(0)
	s_barrier
	buffer_gl0_inv
	v_add_f64 v[22:23], v[38:39], -v[8:9]
	v_add_f64 v[24:25], v[40:41], -v[54:55]
	;; [unrolled: 1-line block ×8, first 2 shown]
	v_lshlrev_b32_e32 v8, 1, v66
	v_add_f64 v[76:77], v[11:12], -v[88:89]
	v_add_f64 v[78:79], v[13:14], -v[90:91]
	;; [unrolled: 1-line block ×3, first 2 shown]
	v_lshlrev_b32_e32 v9, 1, v65
	v_add_f64 v[82:83], v[17:18], -v[6:7]
	v_lshlrev_b32_e32 v7, 1, v67
	v_lshlrev_b32_e32 v6, 1, v64
	v_and_or_b32 v54, 0x7c, v4, v94
	v_and_or_b32 v55, 0xfc, v5, v94
	;; [unrolled: 1-line block ×6, first 2 shown]
	v_fma_f64 v[38:39], v[38:39], 2.0, -v[22:23]
	v_fma_f64 v[40:41], v[40:41], 2.0, -v[24:25]
	;; [unrolled: 1-line block ×8, first 2 shown]
	v_lshlrev_b32_e32 v88, 4, v19
	v_fma_f64 v[11:12], v[11:12], 2.0, -v[76:77]
	v_fma_f64 v[13:14], v[13:14], 2.0, -v[78:79]
	;; [unrolled: 1-line block ×3, first 2 shown]
	v_lshl_add_u32 v54, v54, 4, 0
	v_fma_f64 v[17:18], v[17:18], 2.0, -v[82:83]
	v_lshl_add_u32 v55, v55, 4, 0
	v_lshl_add_u32 v84, v84, 4, 0
	;; [unrolled: 1-line block ×5, first 2 shown]
	ds_write_b128 v54, v[22:25] offset:32
	ds_write_b128 v54, v[38:41]
	ds_write_b128 v55, v[42:45]
	ds_write_b128 v55, v[26:29] offset:32
	ds_write_b128 v84, v[46:49]
	ds_write_b128 v84, v[30:33] offset:32
	ds_write_b128 v85, v[50:53]
	ds_write_b128 v85, v[34:37] offset:32
	ds_write_b128 v86, v[11:14]
	ds_write_b128 v86, v[76:79] offset:32
	ds_write_b128 v87, v[15:18]
	ds_write_b128 v87, v[80:83] offset:32
	s_waitcnt lgkmcnt(0)
	s_barrier
	buffer_gl0_inv
	global_load_dwordx4 v[11:14], v88, s[12:13] offset:32
	ds_read_b128 v[15:18], v69 offset:5376
	ds_read_b128 v[22:25], v69 offset:6272
	;; [unrolled: 1-line block ×6, first 2 shown]
	ds_read_b128 v[42:45], v69
	ds_read_b128 v[46:49], v0
	;; [unrolled: 1-line block ×4, first 2 shown]
	s_waitcnt vmcnt(0) lgkmcnt(9)
	v_mul_f64 v[54:55], v[17:18], v[13:14]
	v_mul_f64 v[80:81], v[15:16], v[13:14]
	s_waitcnt lgkmcnt(8)
	v_mul_f64 v[82:83], v[24:25], v[13:14]
	v_mul_f64 v[84:85], v[22:23], v[13:14]
	s_waitcnt lgkmcnt(7)
	;; [unrolled: 3-line block ×5, first 2 shown]
	v_mul_f64 v[98:99], v[40:41], v[13:14]
	v_mul_f64 v[100:101], v[38:39], v[13:14]
	v_fma_f64 v[54:55], v[15:16], v[11:12], -v[54:55]
	v_fma_f64 v[17:18], v[17:18], v[11:12], v[80:81]
	v_fma_f64 v[80:81], v[22:23], v[11:12], -v[82:83]
	v_fma_f64 v[82:83], v[24:25], v[11:12], v[84:85]
	;; [unrolled: 2-line block ×5, first 2 shown]
	v_fma_f64 v[96:97], v[38:39], v[11:12], -v[98:99]
	ds_read_b128 v[13:16], v3
	ds_read_b128 v[22:25], v10
	v_fma_f64 v[11:12], v[40:41], v[11:12], v[100:101]
	s_waitcnt lgkmcnt(0)
	s_barrier
	buffer_gl0_inv
	v_add_f64 v[26:27], v[42:43], -v[54:55]
	v_add_f64 v[28:29], v[44:45], -v[17:18]
	;; [unrolled: 1-line block ×8, first 2 shown]
	v_and_or_b32 v54, 0x78, v4, v19
	v_add_f64 v[80:81], v[13:14], -v[92:93]
	v_add_f64 v[82:83], v[15:16], -v[94:95]
	;; [unrolled: 1-line block ×3, first 2 shown]
	v_and_or_b32 v55, 0xf8, v5, v19
	v_add_f64 v[86:87], v[24:25], -v[11:12]
	v_and_or_b32 v88, 0x1f8, v7, v19
	v_and_or_b32 v89, 0x1f8, v8, v19
	v_and_or_b32 v90, 0x3f8, v9, v19
	v_and_or_b32 v19, 0x2f8, v6, v19
	v_fma_f64 v[42:43], v[42:43], 2.0, -v[26:27]
	v_fma_f64 v[44:45], v[44:45], 2.0, -v[28:29]
	;; [unrolled: 1-line block ×8, first 2 shown]
	v_lshl_add_u32 v19, v19, 4, 0
	v_fma_f64 v[11:12], v[13:14], 2.0, -v[80:81]
	v_fma_f64 v[13:14], v[15:16], 2.0, -v[82:83]
	;; [unrolled: 1-line block ×3, first 2 shown]
	v_lshlrev_b32_e32 v22, 4, v102
	v_fma_f64 v[17:18], v[24:25], 2.0, -v[86:87]
	v_lshl_add_u32 v23, v54, 4, 0
	v_lshl_add_u32 v24, v55, 4, 0
	;; [unrolled: 1-line block ×5, first 2 shown]
	ds_write_b128 v23, v[26:29] offset:64
	ds_write_b128 v23, v[42:45]
	ds_write_b128 v24, v[46:49]
	ds_write_b128 v24, v[30:33] offset:64
	ds_write_b128 v25, v[50:53]
	ds_write_b128 v25, v[34:37] offset:64
	;; [unrolled: 2-line block ×5, first 2 shown]
	s_waitcnt lgkmcnt(0)
	s_barrier
	buffer_gl0_inv
	global_load_dwordx4 v[11:14], v22, s[12:13] offset:96
	ds_read_b128 v[15:18], v69 offset:5376
	ds_read_b128 v[22:25], v69 offset:6272
	;; [unrolled: 1-line block ×6, first 2 shown]
	ds_read_b128 v[42:45], v69
	ds_read_b128 v[46:49], v0
	;; [unrolled: 1-line block ×4, first 2 shown]
	v_and_or_b32 v19, 0x70, v4, v102
	v_and_or_b32 v4, 0x60, v4, v113
	v_lshl_add_u32 v19, v19, 4, 0
	v_lshl_add_u32 v4, v4, 4, 0
	s_waitcnt vmcnt(0) lgkmcnt(9)
	v_mul_f64 v[54:55], v[17:18], v[13:14]
	v_mul_f64 v[80:81], v[15:16], v[13:14]
	s_waitcnt lgkmcnt(8)
	v_mul_f64 v[82:83], v[24:25], v[13:14]
	v_mul_f64 v[84:85], v[22:23], v[13:14]
	s_waitcnt lgkmcnt(7)
	;; [unrolled: 3-line block ×5, first 2 shown]
	v_mul_f64 v[98:99], v[40:41], v[13:14]
	v_mul_f64 v[100:101], v[38:39], v[13:14]
	v_fma_f64 v[54:55], v[15:16], v[11:12], -v[54:55]
	v_fma_f64 v[17:18], v[17:18], v[11:12], v[80:81]
	v_fma_f64 v[80:81], v[22:23], v[11:12], -v[82:83]
	v_fma_f64 v[82:83], v[24:25], v[11:12], v[84:85]
	;; [unrolled: 2-line block ×5, first 2 shown]
	v_fma_f64 v[96:97], v[38:39], v[11:12], -v[98:99]
	ds_read_b128 v[13:16], v3
	ds_read_b128 v[22:25], v10
	v_fma_f64 v[11:12], v[40:41], v[11:12], v[100:101]
	s_waitcnt lgkmcnt(0)
	s_barrier
	buffer_gl0_inv
	v_add_f64 v[26:27], v[42:43], -v[54:55]
	v_add_f64 v[28:29], v[44:45], -v[17:18]
	;; [unrolled: 1-line block ×8, first 2 shown]
	v_and_or_b32 v54, 0xf0, v5, v102
	v_add_f64 v[80:81], v[13:14], -v[92:93]
	v_add_f64 v[82:83], v[15:16], -v[94:95]
	;; [unrolled: 1-line block ×3, first 2 shown]
	v_and_or_b32 v55, 0x1f0, v7, v102
	v_add_f64 v[86:87], v[24:25], -v[11:12]
	v_and_or_b32 v88, 0x1f0, v8, v102
	v_and_or_b32 v89, 0x3f0, v9, v102
	;; [unrolled: 1-line block ×5, first 2 shown]
	v_fma_f64 v[42:43], v[42:43], 2.0, -v[26:27]
	v_fma_f64 v[44:45], v[44:45], 2.0, -v[28:29]
	;; [unrolled: 1-line block ×8, first 2 shown]
	v_lshl_add_u32 v5, v5, 4, 0
	v_fma_f64 v[11:12], v[13:14], 2.0, -v[80:81]
	v_fma_f64 v[13:14], v[15:16], 2.0, -v[82:83]
	;; [unrolled: 1-line block ×3, first 2 shown]
	v_lshlrev_b32_e32 v23, 4, v113
	v_fma_f64 v[17:18], v[24:25], 2.0, -v[86:87]
	v_lshlrev_b32_e32 v22, 4, v110
	v_lshl_add_u32 v24, v54, 4, 0
	v_lshl_add_u32 v25, v55, 4, 0
	v_lshl_add_u32 v54, v88, 4, 0
	v_lshl_add_u32 v55, v89, 4, 0
	v_lshl_add_u32 v88, v90, 4, 0
	ds_write_b128 v19, v[26:29] offset:128
	ds_write_b128 v19, v[42:45]
	ds_write_b128 v24, v[46:49]
	ds_write_b128 v24, v[30:33] offset:128
	ds_write_b128 v25, v[50:53]
	ds_write_b128 v25, v[34:37] offset:128
	;; [unrolled: 2-line block ×5, first 2 shown]
	s_waitcnt lgkmcnt(0)
	s_barrier
	buffer_gl0_inv
	s_clause 0x1
	global_load_dwordx4 v[11:14], v23, s[12:13] offset:224
	global_load_dwordx4 v[15:18], v22, s[12:13] offset:224
	v_lshlrev_b32_e32 v19, 4, v111
	v_lshlrev_b32_e32 v26, 4, v112
	s_clause 0x1
	global_load_dwordx4 v[22:25], v19, s[12:13] offset:224
	global_load_dwordx4 v[26:29], v26, s[12:13] offset:224
	ds_read_b128 v[30:33], v69 offset:5376
	ds_read_b128 v[34:37], v69 offset:6272
	;; [unrolled: 1-line block ×6, first 2 shown]
	ds_read_b128 v[76:79], v69
	ds_read_b128 v[80:83], v0
	;; [unrolled: 1-line block ×5, first 2 shown]
	v_lshl_add_u32 v6, v6, 4, 0
	v_and_b32_e32 v110, 31, v67
	s_waitcnt vmcnt(3) lgkmcnt(10)
	v_mul_f64 v[54:55], v[32:33], v[13:14]
	v_mul_f64 v[96:97], v[30:31], v[13:14]
	s_waitcnt vmcnt(2) lgkmcnt(9)
	v_mul_f64 v[98:99], v[36:37], v[17:18]
	v_mul_f64 v[17:18], v[34:35], v[17:18]
	s_waitcnt lgkmcnt(8)
	v_mul_f64 v[100:101], v[40:41], v[13:14]
	v_mul_f64 v[102:103], v[38:39], v[13:14]
	s_waitcnt vmcnt(1) lgkmcnt(7)
	v_mul_f64 v[104:105], v[44:45], v[24:25]
	v_mul_f64 v[24:25], v[42:43], v[24:25]
	s_waitcnt lgkmcnt(6)
	v_mul_f64 v[106:107], v[48:49], v[13:14]
	v_mul_f64 v[13:14], v[46:47], v[13:14]
	s_waitcnt vmcnt(0) lgkmcnt(5)
	v_mul_f64 v[108:109], v[52:53], v[28:29]
	v_mul_f64 v[28:29], v[50:51], v[28:29]
	v_fma_f64 v[30:31], v[30:31], v[11:12], -v[54:55]
	v_fma_f64 v[32:33], v[32:33], v[11:12], v[96:97]
	v_fma_f64 v[34:35], v[34:35], v[15:16], -v[98:99]
	v_fma_f64 v[18:19], v[36:37], v[15:16], v[17:18]
	;; [unrolled: 2-line block ×6, first 2 shown]
	ds_read_b128 v[10:13], v10
	v_and_or_b32 v54, 0x3e0, v9, v113
	v_and_b32_e32 v108, 31, v58
	s_waitcnt lgkmcnt(0)
	s_barrier
	buffer_gl0_inv
	v_and_b32_e32 v109, 31, v62
	v_add_f64 v[14:15], v[76:77], -v[30:31]
	v_add_f64 v[16:17], v[78:79], -v[32:33]
	;; [unrolled: 1-line block ×12, first 2 shown]
	v_and_or_b32 v18, 0x1e0, v7, v113
	v_and_or_b32 v19, 0x1e0, v8, v111
	v_and_b32_e32 v111, 31, v66
	v_fma_f64 v[42:43], v[76:77], 2.0, -v[14:15]
	v_fma_f64 v[44:45], v[78:79], 2.0, -v[16:17]
	;; [unrolled: 1-line block ×12, first 2 shown]
	v_lshlrev_b32_e32 v11, 5, v108
	v_lshl_add_u32 v12, v18, 4, 0
	v_lshl_add_u32 v13, v19, 4, 0
	;; [unrolled: 1-line block ×3, first 2 shown]
	ds_write_b128 v4, v[14:17] offset:256
	ds_write_b128 v4, v[42:45]
	ds_write_b128 v5, v[46:49]
	ds_write_b128 v5, v[22:25] offset:256
	ds_write_b128 v12, v[50:53]
	ds_write_b128 v12, v[26:29] offset:256
	;; [unrolled: 2-line block ×5, first 2 shown]
	s_waitcnt lgkmcnt(0)
	s_barrier
	buffer_gl0_inv
	s_clause 0x1
	global_load_dwordx4 v[4:7], v11, s[12:13] offset:480
	global_load_dwordx4 v[8:11], v11, s[12:13] offset:496
	v_lshlrev_b32_e32 v16, 5, v109
	v_lshlrev_b32_e32 v26, 5, v110
	s_clause 0x2
	global_load_dwordx4 v[12:15], v16, s[12:13] offset:480
	global_load_dwordx4 v[16:19], v16, s[12:13] offset:496
	;; [unrolled: 1-line block ×3, first 2 shown]
	v_lshlrev_b32_e32 v34, 5, v111
	s_clause 0x2
	global_load_dwordx4 v[26:29], v26, s[12:13] offset:496
	global_load_dwordx4 v[30:33], v34, s[12:13] offset:480
	;; [unrolled: 1-line block ×3, first 2 shown]
	ds_read_b128 v[38:41], v3
	ds_read_b128 v[42:45], v69 offset:7168
	ds_read_b128 v[46:49], v69 offset:4480
	ds_read_b128 v[50:53], v2
	ds_read_b128 v[76:79], v69 offset:8064
	ds_read_b128 v[80:83], v69 offset:8960
	;; [unrolled: 1-line block ×5, first 2 shown]
	ds_read_b128 v[96:99], v69
	s_waitcnt vmcnt(7) lgkmcnt(9)
	v_mul_f64 v[2:3], v[40:41], v[6:7]
	v_mul_f64 v[6:7], v[38:39], v[6:7]
	s_waitcnt vmcnt(6) lgkmcnt(8)
	v_mul_f64 v[54:55], v[44:45], v[10:11]
	v_mul_f64 v[10:11], v[42:43], v[10:11]
	;; [unrolled: 3-line block ×5, first 2 shown]
	s_waitcnt vmcnt(2)
	v_mul_f64 v[106:107], v[82:83], v[28:29]
	v_fma_f64 v[38:39], v[38:39], v[4:5], -v[2:3]
	v_mul_f64 v[2:3], v[80:81], v[28:29]
	v_fma_f64 v[40:41], v[40:41], v[4:5], v[6:7]
	s_waitcnt vmcnt(1) lgkmcnt(2)
	v_mul_f64 v[4:5], v[90:91], v[32:33]
	v_mul_f64 v[6:7], v[88:89], v[32:33]
	s_waitcnt vmcnt(0) lgkmcnt(1)
	v_mul_f64 v[28:29], v[94:95], v[36:37]
	v_fma_f64 v[32:33], v[42:43], v[8:9], -v[54:55]
	v_fma_f64 v[10:11], v[44:45], v[8:9], v[10:11]
	v_mul_f64 v[8:9], v[92:93], v[36:37]
	v_fma_f64 v[36:37], v[46:47], v[12:13], -v[100:101]
	v_fma_f64 v[42:43], v[76:77], v[16:17], -v[102:103]
	v_fma_f64 v[12:13], v[48:49], v[12:13], v[14:15]
	v_fma_f64 v[14:15], v[78:79], v[16:17], v[18:19]
	v_fma_f64 v[16:17], v[84:85], v[22:23], -v[104:105]
	v_fma_f64 v[18:19], v[80:81], v[26:27], -v[106:107]
	v_fma_f64 v[22:23], v[86:87], v[22:23], v[24:25]
	v_lshrrev_b32_e32 v54, 5, v58
	v_lshrrev_b32_e32 v55, 5, v62
	v_mul_u32_u24_e32 v48, 0x60, v54
	v_mul_lo_u32 v54, 0x60, v55
	v_fma_f64 v[44:45], v[82:83], v[26:27], v[2:3]
	s_waitcnt lgkmcnt(0)
	v_add_f64 v[76:77], v[98:99], v[40:41]
	v_fma_f64 v[24:25], v[88:89], v[30:31], -v[4:5]
	v_fma_f64 v[26:27], v[90:91], v[30:31], v[6:7]
	v_fma_f64 v[46:47], v[92:93], v[34:35], -v[28:29]
	v_lshrrev_b32_e32 v28, 5, v67
	v_lshrrev_b32_e32 v30, 5, v66
	v_fma_f64 v[34:35], v[94:95], v[34:35], v[8:9]
	ds_read_b128 v[2:5], v0
	ds_read_b128 v[6:9], v1
	v_add_f64 v[0:1], v[38:39], v[32:33]
	v_mul_lo_u32 v106, 0x60, v28
	v_add_f64 v[28:29], v[40:41], v[10:11]
	v_mul_lo_u32 v107, 0x60, v30
	v_add_f64 v[30:31], v[36:37], v[42:43]
	v_or_b32_e32 v108, v48, v108
	v_add_f64 v[48:49], v[12:13], v[14:15]
	v_or_b32_e32 v109, v54, v109
	v_add_f64 v[54:55], v[16:17], v[18:19]
	v_add_f64 v[80:81], v[96:97], v[38:39]
	v_add_f64 v[40:41], v[40:41], -v[10:11]
	v_add_f64 v[86:87], v[38:39], -v[32:33]
	v_add_f64 v[78:79], v[22:23], v[44:45]
	v_add_f64 v[102:103], v[22:23], -v[44:45]
	v_add_f64 v[100:101], v[50:51], v[24:25]
	v_add_f64 v[94:95], v[52:53], v[26:27]
	;; [unrolled: 1-line block ×3, first 2 shown]
	v_add_f64 v[104:105], v[24:25], -v[46:47]
	s_waitcnt lgkmcnt(1)
	v_add_f64 v[38:39], v[4:5], v[12:13]
	v_add_f64 v[84:85], v[26:27], v[34:35]
	;; [unrolled: 1-line block ×3, first 2 shown]
	s_waitcnt lgkmcnt(0)
	v_add_f64 v[90:91], v[8:9], v[22:23]
	v_fma_f64 v[0:1], v[0:1], -0.5, v[96:97]
	v_add_f64 v[12:13], v[12:13], -v[14:15]
	v_fma_f64 v[96:97], v[28:29], -0.5, v[98:99]
	v_add_f64 v[98:99], v[36:37], -v[42:43]
	v_fma_f64 v[2:3], v[30:31], -0.5, v[2:3]
	v_add_f64 v[92:93], v[6:7], v[16:17]
	v_fma_f64 v[4:5], v[48:49], -0.5, v[4:5]
	v_add_f64 v[16:17], v[16:17], -v[18:19]
	v_fma_f64 v[6:7], v[54:55], -0.5, v[6:7]
	v_add_f64 v[54:55], v[26:27], -v[34:35]
	v_add_f64 v[24:25], v[76:77], v[10:11]
	v_add_f64 v[22:23], v[80:81], v[32:33]
	v_fma_f64 v[78:79], v[78:79], -0.5, v[8:9]
	v_add_f64 v[8:9], v[100:101], v[46:47]
	v_add_f64 v[10:11], v[94:95], v[34:35]
	v_fma_f64 v[50:51], v[82:83], -0.5, v[50:51]
	s_barrier
	v_add_f64 v[28:29], v[38:39], v[14:15]
	v_fma_f64 v[52:53], v[84:85], -0.5, v[52:53]
	v_add_f64 v[26:27], v[88:89], v[42:43]
	v_add_f64 v[32:33], v[90:91], v[44:45]
	v_fma_f64 v[34:35], v[40:41], s[0:1], v[0:1]
	v_fma_f64 v[38:39], v[40:41], s[4:5], v[0:1]
	;; [unrolled: 1-line block ×8, first 2 shown]
	v_add_f64 v[30:31], v[92:93], v[18:19]
	v_fma_f64 v[0:1], v[102:103], s[0:1], v[6:7]
	v_fma_f64 v[4:5], v[102:103], s[4:5], v[6:7]
	buffer_gl0_inv
	v_fma_f64 v[2:3], v[16:17], s[4:5], v[78:79]
	v_fma_f64 v[6:7], v[16:17], s[0:1], v[78:79]
	v_add_nc_u32_e32 v76, v20, v21
	v_fma_f64 v[12:13], v[54:55], s[0:1], v[50:51]
	v_fma_f64 v[16:17], v[54:55], s[4:5], v[50:51]
	v_or_b32_e32 v50, v106, v110
	v_fma_f64 v[14:15], v[104:105], s[4:5], v[52:53]
	v_fma_f64 v[18:19], v[104:105], s[0:1], v[52:53]
	v_or_b32_e32 v51, v107, v111
	v_lshl_add_u32 v52, v108, 4, 0
	v_lshl_add_u32 v53, v109, 4, 0
	;; [unrolled: 1-line block ×3, first 2 shown]
	v_cmp_gt_u32_e64 s0, 40, v58
	v_lshl_add_u32 v51, v51, 4, 0
	ds_write_b128 v52, v[22:25]
	ds_write_b128 v52, v[34:37] offset:512
	ds_write_b128 v52, v[38:41] offset:1024
	ds_write_b128 v53, v[26:29]
	ds_write_b128 v53, v[42:45] offset:512
	ds_write_b128 v53, v[46:49] offset:1024
	;; [unrolled: 3-line block ×4, first 2 shown]
	s_waitcnt lgkmcnt(0)
	s_barrier
	buffer_gl0_inv
	ds_read_b128 v[28:31], v69
	ds_read_b128 v[48:51], v69 offset:1536
	ds_read_b128 v[44:47], v69 offset:3072
	ds_read_b128 v[36:39], v69 offset:4608
	ds_read_b128 v[32:35], v69 offset:6144
	ds_read_b128 v[40:43], v69 offset:7680
	ds_read_b128 v[52:55], v69 offset:9216
                                        ; implicit-def: $vgpr26_vgpr27
                                        ; implicit-def: $vgpr22_vgpr23
	s_and_saveexec_b32 s1, s0
	s_cbranch_execz .LBB0_15
; %bb.14:
	ds_read_b128 v[0:3], v76
	ds_read_b128 v[4:7], v69 offset:2432
	ds_read_b128 v[8:11], v69 offset:3968
	;; [unrolled: 1-line block ×6, first 2 shown]
.LBB0_15:
	s_or_b32 exec_lo, exec_lo, s1
	v_mul_u32_u24_e32 v77, 6, v58
	s_mov_b32 s8, 0x37e14327
	s_mov_b32 s16, 0xe976ee23
	s_mov_b32 s9, 0x3fe948f6
	s_mov_b32 s17, 0xbfe11646
	v_lshlrev_b32_e32 v97, 4, v77
	s_mov_b32 s6, 0x429ad128
	s_mov_b32 s4, 0x36b3c0b5
	;; [unrolled: 1-line block ×4, first 2 shown]
	s_clause 0x5
	global_load_dwordx4 v[77:80], v97, s[12:13] offset:1504
	global_load_dwordx4 v[81:84], v97, s[12:13] offset:1520
	;; [unrolled: 1-line block ×6, first 2 shown]
	s_mov_b32 s14, 0xaaaaaaaa
	s_mov_b32 s22, 0xb247c609
	s_mov_b32 s15, 0xbff2aaaa
	s_mov_b32 s18, 0x5476071b
	s_mov_b32 s23, 0x3fd5d0dc
	s_mov_b32 s19, 0x3fe77f67
	s_mov_b32 s21, 0xbfe77f67
	s_mov_b32 s25, 0xbfd5d0dc
	s_mov_b32 s20, s18
	s_mov_b32 s24, s22
	s_mov_b32 s26, 0x37c3f68c
	s_mov_b32 s27, 0x3fdc38aa
	s_waitcnt vmcnt(0) lgkmcnt(0)
	s_barrier
	buffer_gl0_inv
	v_mul_f64 v[101:102], v[50:51], v[79:80]
	v_mul_f64 v[79:80], v[48:49], v[79:80]
	;; [unrolled: 1-line block ×12, first 2 shown]
	v_fma_f64 v[48:49], v[48:49], v[77:78], -v[101:102]
	v_fma_f64 v[50:51], v[50:51], v[77:78], v[79:80]
	v_fma_f64 v[44:45], v[44:45], v[81:82], -v[103:104]
	v_fma_f64 v[46:47], v[46:47], v[81:82], v[83:84]
	;; [unrolled: 2-line block ×6, first 2 shown]
	v_add_f64 v[77:78], v[48:49], v[52:53]
	v_add_f64 v[79:80], v[50:51], v[54:55]
	;; [unrolled: 1-line block ×4, first 2 shown]
	v_add_f64 v[40:41], v[44:45], -v[40:41]
	v_add_f64 v[42:43], v[46:47], -v[42:43]
	v_add_f64 v[44:45], v[36:37], v[32:33]
	v_add_f64 v[46:47], v[38:39], v[34:35]
	v_add_f64 v[32:33], v[32:33], -v[36:37]
	v_add_f64 v[34:35], v[34:35], -v[38:39]
	;; [unrolled: 1-line block ×4, first 2 shown]
	v_add_f64 v[48:49], v[81:82], v[77:78]
	v_add_f64 v[50:51], v[83:84], v[79:80]
	v_add_f64 v[52:53], v[77:78], -v[44:45]
	v_add_f64 v[54:55], v[79:80], -v[46:47]
	;; [unrolled: 1-line block ×6, first 2 shown]
	v_add_f64 v[40:41], v[32:33], v[40:41]
	v_add_f64 v[42:43], v[34:35], v[42:43]
	v_add_f64 v[32:33], v[36:37], -v[32:33]
	v_add_f64 v[34:35], v[38:39], -v[34:35]
	;; [unrolled: 1-line block ×4, first 2 shown]
	v_add_f64 v[48:49], v[44:45], v[48:49]
	v_add_f64 v[50:51], v[46:47], v[50:51]
	v_add_f64 v[44:45], v[44:45], -v[81:82]
	v_add_f64 v[46:47], v[46:47], -v[83:84]
	v_mul_f64 v[52:53], v[52:53], s[8:9]
	v_mul_f64 v[54:55], v[54:55], s[8:9]
	;; [unrolled: 1-line block ×6, first 2 shown]
	v_add_f64 v[36:37], v[40:41], v[36:37]
	v_add_f64 v[38:39], v[42:43], v[38:39]
	;; [unrolled: 1-line block ×4, first 2 shown]
	v_mul_f64 v[81:82], v[44:45], s[4:5]
	v_mul_f64 v[83:84], v[46:47], s[4:5]
	v_fma_f64 v[40:41], v[44:45], s[4:5], v[52:53]
	v_fma_f64 v[42:43], v[46:47], s[4:5], v[54:55]
	;; [unrolled: 1-line block ×4, first 2 shown]
	v_fma_f64 v[85:86], v[89:90], s[6:7], -v[85:86]
	v_fma_f64 v[87:88], v[91:92], s[6:7], -v[87:88]
	;; [unrolled: 1-line block ×6, first 2 shown]
	v_fma_f64 v[48:49], v[48:49], s[14:15], v[28:29]
	v_fma_f64 v[50:51], v[50:51], s[14:15], v[30:31]
	v_fma_f64 v[77:78], v[77:78], s[18:19], -v[81:82]
	v_fma_f64 v[79:80], v[79:80], s[18:19], -v[83:84]
	v_fma_f64 v[81:82], v[36:37], s[26:27], v[44:45]
	v_fma_f64 v[83:84], v[38:39], s[26:27], v[46:47]
	;; [unrolled: 1-line block ×6, first 2 shown]
	v_add_f64 v[89:90], v[40:41], v[48:49]
	v_add_f64 v[91:92], v[42:43], v[50:51]
	;; [unrolled: 1-line block ×7, first 2 shown]
	v_add_f64 v[34:35], v[91:92], -v[81:82]
	v_add_f64 v[36:37], v[87:88], v[52:53]
	v_add_f64 v[38:39], v[54:55], -v[85:86]
	v_add_f64 v[40:41], v[48:49], -v[44:45]
	v_add_f64 v[42:43], v[46:47], v[50:51]
	v_add_f64 v[44:45], v[44:45], v[48:49]
	v_add_f64 v[46:47], v[50:51], -v[46:47]
	v_add_f64 v[48:49], v[52:53], -v[87:88]
	v_add_f64 v[50:51], v[85:86], v[54:55]
	v_add_f64 v[52:53], v[89:90], -v[83:84]
	v_add_f64 v[54:55], v[81:82], v[91:92]
	ds_write_b128 v69, v[28:31]
	ds_write_b128 v69, v[32:35] offset:1536
	ds_write_b128 v69, v[36:39] offset:3072
	;; [unrolled: 1-line block ×6, first 2 shown]
	s_and_saveexec_b32 s1, s0
	s_cbranch_execz .LBB0_17
; %bb.16:
	v_subrev_nc_u32_e32 v28, 40, v58
	v_mov_b32_e32 v29, 0
	v_cndmask_b32_e64 v28, v28, v62, s0
	v_mul_i32_i24_e32 v28, 6, v28
	v_lshlrev_b64 v[28:29], 4, v[28:29]
	v_add_co_u32 v48, s0, s12, v28
	v_add_co_ci_u32_e64 v49, s0, s13, v29, s0
	s_clause 0x5
	global_load_dwordx4 v[28:31], v[48:49], off offset:1520
	global_load_dwordx4 v[32:35], v[48:49], off offset:1568
	;; [unrolled: 1-line block ×6, first 2 shown]
	s_waitcnt vmcnt(5)
	v_mul_f64 v[52:53], v[8:9], v[30:31]
	s_waitcnt vmcnt(4)
	v_mul_f64 v[54:55], v[20:21], v[34:35]
	;; [unrolled: 2-line block ×4, first 2 shown]
	v_mul_f64 v[30:31], v[10:11], v[30:31]
	v_mul_f64 v[34:35], v[22:23], v[34:35]
	;; [unrolled: 1-line block ×4, first 2 shown]
	s_waitcnt vmcnt(1)
	v_mul_f64 v[81:82], v[18:19], v[46:47]
	s_waitcnt vmcnt(0)
	v_mul_f64 v[83:84], v[14:15], v[50:51]
	v_mul_f64 v[50:51], v[12:13], v[50:51]
	;; [unrolled: 1-line block ×3, first 2 shown]
	v_fma_f64 v[10:11], v[10:11], v[28:29], v[52:53]
	v_fma_f64 v[22:23], v[22:23], v[32:33], v[54:55]
	;; [unrolled: 1-line block ×4, first 2 shown]
	v_fma_f64 v[8:9], v[8:9], v[28:29], -v[30:31]
	v_fma_f64 v[20:21], v[20:21], v[32:33], -v[34:35]
	;; [unrolled: 1-line block ×6, first 2 shown]
	v_fma_f64 v[14:15], v[14:15], v[48:49], v[50:51]
	v_fma_f64 v[18:19], v[18:19], v[44:45], v[46:47]
	v_add_f64 v[28:29], v[10:11], v[22:23]
	v_add_f64 v[10:11], v[10:11], -v[22:23]
	v_add_f64 v[30:31], v[6:7], v[26:27]
	v_add_f64 v[6:7], v[6:7], -v[26:27]
	;; [unrolled: 2-line block ×4, first 2 shown]
	v_add_f64 v[36:37], v[16:17], -v[12:13]
	v_add_f64 v[12:13], v[12:13], v[16:17]
	v_add_f64 v[20:21], v[14:15], v[18:19]
	v_add_f64 v[14:15], v[18:19], -v[14:15]
	v_add_f64 v[16:17], v[28:29], v[30:31]
	v_add_f64 v[42:43], v[10:11], -v[6:7]
	;; [unrolled: 2-line block ×3, first 2 shown]
	v_add_f64 v[22:23], v[36:37], -v[8:9]
	v_add_f64 v[26:27], v[34:35], -v[12:13]
	;; [unrolled: 1-line block ×4, first 2 shown]
	v_add_f64 v[8:9], v[36:37], v[8:9]
	v_add_f64 v[36:37], v[4:5], -v[36:37]
	v_add_f64 v[10:11], v[14:15], v[10:11]
	v_add_f64 v[14:15], v[6:7], -v[14:15]
	;; [unrolled: 2-line block ×3, first 2 shown]
	v_add_f64 v[28:29], v[28:29], -v[30:31]
	v_mul_f64 v[46:47], v[42:43], s[6:7]
	v_add_f64 v[18:19], v[12:13], v[18:19]
	v_add_f64 v[12:13], v[12:13], -v[32:33]
	v_mul_f64 v[22:23], v[22:23], s[16:17]
	v_mul_f64 v[26:27], v[26:27], s[8:9]
	v_mul_f64 v[24:25], v[24:25], s[8:9]
	v_mul_f64 v[44:45], v[38:39], s[6:7]
	v_mul_f64 v[40:41], v[40:41], s[16:17]
	v_add_f64 v[32:33], v[32:33], -v[34:35]
	v_add_f64 v[4:5], v[8:9], v[4:5]
	v_add_f64 v[6:7], v[10:11], v[6:7]
	;; [unrolled: 1-line block ×3, first 2 shown]
	v_mul_f64 v[30:31], v[20:21], s[4:5]
	v_add_f64 v[0:1], v[0:1], v[18:19]
	v_mul_f64 v[34:35], v[12:13], s[4:5]
	v_fma_f64 v[8:9], v[36:37], s[22:23], v[22:23]
	v_fma_f64 v[12:13], v[12:13], s[4:5], v[26:27]
	;; [unrolled: 1-line block ×3, first 2 shown]
	v_fma_f64 v[20:21], v[36:37], s[24:25], -v[44:45]
	v_fma_f64 v[22:23], v[38:39], s[6:7], -v[22:23]
	;; [unrolled: 1-line block ×5, first 2 shown]
	v_fma_f64 v[16:17], v[16:17], s[14:15], v[2:3]
	v_fma_f64 v[28:29], v[28:29], s[18:19], -v[30:31]
	v_fma_f64 v[30:31], v[14:15], s[22:23], v[40:41]
	v_fma_f64 v[14:15], v[14:15], s[24:25], -v[46:47]
	;; [unrolled: 2-line block ×3, first 2 shown]
	v_fma_f64 v[8:9], v[4:5], s[26:27], v[8:9]
	v_fma_f64 v[20:21], v[4:5], s[26:27], v[20:21]
	;; [unrolled: 1-line block ×4, first 2 shown]
	v_add_f64 v[34:35], v[10:11], v[16:17]
	v_add_f64 v[22:23], v[24:25], v[16:17]
	;; [unrolled: 1-line block ×3, first 2 shown]
	v_fma_f64 v[28:29], v[6:7], s[26:27], v[30:31]
	v_add_f64 v[38:39], v[12:13], v[18:19]
	v_fma_f64 v[30:31], v[6:7], s[26:27], v[14:15]
	v_add_f64 v[40:41], v[26:27], v[18:19]
	v_add_f64 v[12:13], v[32:33], v[18:19]
	v_add_f64 v[26:27], v[34:35], -v[8:9]
	v_add_f64 v[10:11], v[20:21], v[22:23]
	v_add_f64 v[22:23], v[22:23], -v[20:21]
	v_add_f64 v[14:15], v[16:17], -v[4:5]
	v_add_f64 v[24:25], v[28:29], v[38:39]
	v_add_f64 v[18:19], v[4:5], v[16:17]
	;; [unrolled: 1-line block ×3, first 2 shown]
	v_add_f64 v[16:17], v[12:13], -v[36:37]
	v_add_f64 v[12:13], v[36:37], v[12:13]
	v_add_f64 v[6:7], v[8:9], v[34:35]
	v_add_f64 v[8:9], v[40:41], -v[30:31]
	v_add_f64 v[4:5], v[38:39], -v[28:29]
	ds_write_b128 v69, v[0:3] offset:896
	ds_write_b128 v69, v[24:27] offset:2432
	;; [unrolled: 1-line block ×7, first 2 shown]
.LBB0_17:
	s_or_b32 exec_lo, exec_lo, s1
	s_waitcnt lgkmcnt(0)
	s_barrier
	buffer_gl0_inv
	ds_read_b128 v[4:7], v69
	v_sub_nc_u32_e32 v12, 0, v59
	s_add_u32 s1, s12, 0x29e0
	s_addc_u32 s4, s13, 0
	s_mov_b32 s5, exec_lo
                                        ; implicit-def: $vgpr0_vgpr1
                                        ; implicit-def: $vgpr8_vgpr9
                                        ; implicit-def: $vgpr10_vgpr11
	v_cmpx_ne_u32_e32 0, v58
	s_xor_b32 s5, exec_lo, s5
	s_cbranch_execz .LBB0_19
; %bb.18:
	v_mov_b32_e32 v59, 0
	v_lshlrev_b64 v[0:1], 4, v[58:59]
	v_add_co_u32 v0, s0, s1, v0
	v_add_co_ci_u32_e64 v1, s0, s4, v1, s0
	global_load_dwordx4 v[13:16], v[0:1], off
	ds_read_b128 v[0:3], v12 offset:10752
	s_waitcnt lgkmcnt(0)
	v_add_f64 v[8:9], v[4:5], -v[0:1]
	v_add_f64 v[10:11], v[6:7], v[2:3]
	v_add_f64 v[2:3], v[6:7], -v[2:3]
	v_add_f64 v[0:1], v[4:5], v[0:1]
	v_mul_f64 v[6:7], v[8:9], 0.5
	v_mul_f64 v[4:5], v[10:11], 0.5
	;; [unrolled: 1-line block ×3, first 2 shown]
	s_waitcnt vmcnt(0)
	v_mul_f64 v[8:9], v[6:7], v[15:16]
	v_fma_f64 v[10:11], v[4:5], v[15:16], v[2:3]
	v_fma_f64 v[2:3], v[4:5], v[15:16], -v[2:3]
	v_fma_f64 v[17:18], v[0:1], 0.5, v[8:9]
	v_fma_f64 v[0:1], v[0:1], 0.5, -v[8:9]
	v_fma_f64 v[10:11], -v[13:14], v[6:7], v[10:11]
	v_fma_f64 v[2:3], -v[13:14], v[6:7], v[2:3]
	v_fma_f64 v[8:9], v[4:5], v[13:14], v[17:18]
	v_fma_f64 v[0:1], -v[4:5], v[13:14], v[0:1]
                                        ; implicit-def: $vgpr4_vgpr5
.LBB0_19:
	s_or_saveexec_b32 s0, s5
	v_sub_nc_u32_e32 v16, 0, v63
	v_sub_nc_u32_e32 v15, 0, v68
	;; [unrolled: 1-line block ×4, first 2 shown]
	s_xor_b32 exec_lo, exec_lo, s0
	s_cbranch_execz .LBB0_21
; %bb.20:
	v_mov_b32_e32 v19, 0
	s_waitcnt lgkmcnt(0)
	v_add_f64 v[8:9], v[4:5], v[6:7]
	v_add_f64 v[0:1], v[4:5], -v[6:7]
	v_mov_b32_e32 v10, 0
	v_mov_b32_e32 v11, 0
	ds_read_b64 v[17:18], v19 offset:5384
	v_mov_b32_e32 v2, v10
	v_mov_b32_e32 v3, v11
	s_waitcnt lgkmcnt(0)
	v_xor_b32_e32 v18, 0x80000000, v18
	ds_write_b64 v19, v[17:18] offset:5384
.LBB0_21:
	s_or_b32 exec_lo, exec_lo, s0
	v_mov_b32_e32 v63, 0
	ds_write2_b64 v69, v[8:9], v[10:11] offset1:1
	ds_write_b128 v12, v[0:3] offset:10752
	v_add_nc_u32_e32 v29, v70, v16
	v_add_nc_u32_e32 v14, v72, v14
	s_waitcnt lgkmcnt(2)
	v_lshlrev_b64 v[4:5], 4, v[62:63]
	v_mov_b32_e32 v68, v63
	v_lshlrev_b64 v[17:18], 4, v[67:68]
	v_add_co_u32 v4, s0, s1, v4
	v_add_co_ci_u32_e64 v5, s0, s4, v5, s0
	v_mov_b32_e32 v67, v63
	v_add_co_u32 v17, s0, s1, v17
	global_load_dwordx4 v[4:7], v[4:5], off
	v_add_co_ci_u32_e64 v18, s0, s4, v18, s0
	v_lshlrev_b64 v[21:22], 4, v[66:67]
	v_mov_b32_e32 v66, v63
	global_load_dwordx4 v[17:20], v[17:18], off
	ds_read_b128 v[0:3], v76
	ds_read_b128 v[8:11], v12 offset:9856
	v_add_co_u32 v21, s0, s1, v21
	v_add_co_ci_u32_e64 v22, s0, s4, v22, s0
	global_load_dwordx4 v[21:24], v[21:22], off
	s_waitcnt lgkmcnt(0)
	v_add_f64 v[25:26], v[0:1], -v[8:9]
	v_add_f64 v[27:28], v[2:3], v[10:11]
	v_add_f64 v[2:3], v[2:3], -v[10:11]
	v_add_f64 v[0:1], v[0:1], v[8:9]
	v_mul_f64 v[10:11], v[25:26], 0.5
	v_mul_f64 v[25:26], v[27:28], 0.5
	;; [unrolled: 1-line block ×3, first 2 shown]
	s_waitcnt vmcnt(2)
	v_mul_f64 v[8:9], v[10:11], v[6:7]
	v_fma_f64 v[27:28], v[25:26], v[6:7], v[2:3]
	v_fma_f64 v[2:3], v[25:26], v[6:7], -v[2:3]
	v_fma_f64 v[6:7], v[0:1], 0.5, v[8:9]
	v_fma_f64 v[0:1], v[0:1], 0.5, -v[8:9]
	v_fma_f64 v[8:9], -v[4:5], v[10:11], v[27:28]
	v_fma_f64 v[2:3], -v[4:5], v[10:11], v[2:3]
	v_lshlrev_b64 v[10:11], 4, v[65:66]
	v_mov_b32_e32 v65, v63
	v_fma_f64 v[6:7], v[25:26], v[4:5], v[6:7]
	v_fma_f64 v[0:1], -v[25:26], v[4:5], v[0:1]
	ds_write_b64 v76, v[8:9] offset:8
	ds_write_b64 v12, v[2:3] offset:9864
	ds_write_b64 v76, v[6:7]
	ds_write_b64 v12, v[0:1] offset:9856
	v_add_co_u32 v8, s0, s1, v10
	v_add_co_ci_u32_e64 v9, s0, s4, v11, s0
	ds_read_b128 v[0:3], v29
	ds_read_b128 v[4:7], v12 offset:8960
	global_load_dwordx4 v[8:11], v[8:9], off
	s_waitcnt lgkmcnt(0)
	v_add_f64 v[25:26], v[0:1], -v[4:5]
	v_add_f64 v[27:28], v[2:3], v[6:7]
	v_add_f64 v[2:3], v[2:3], -v[6:7]
	v_add_f64 v[0:1], v[0:1], v[4:5]
	v_mul_f64 v[6:7], v[25:26], 0.5
	v_mul_f64 v[25:26], v[27:28], 0.5
	;; [unrolled: 1-line block ×3, first 2 shown]
	s_waitcnt vmcnt(2)
	v_mul_f64 v[4:5], v[6:7], v[19:20]
	v_fma_f64 v[27:28], v[25:26], v[19:20], v[2:3]
	v_fma_f64 v[2:3], v[25:26], v[19:20], -v[2:3]
	v_fma_f64 v[19:20], v[0:1], 0.5, v[4:5]
	v_fma_f64 v[0:1], v[0:1], 0.5, -v[4:5]
	v_fma_f64 v[4:5], -v[17:18], v[6:7], v[27:28]
	v_fma_f64 v[2:3], -v[17:18], v[6:7], v[2:3]
	v_add_nc_u32_e32 v27, v73, v15
	v_lshlrev_b64 v[15:16], 4, v[64:65]
	v_add_co_u32 v15, s0, s1, v15
	v_add_co_ci_u32_e64 v16, s0, s4, v16, s0
	v_fma_f64 v[6:7], v[25:26], v[17:18], v[19:20]
	v_fma_f64 v[0:1], -v[25:26], v[17:18], v[0:1]
	ds_write_b64 v29, v[4:5] offset:8
	ds_write_b64 v12, v[2:3] offset:8968
	ds_write_b64 v29, v[6:7]
	ds_write_b64 v12, v[0:1] offset:8960
	ds_read_b128 v[0:3], v27
	ds_read_b128 v[4:7], v12 offset:8064
	global_load_dwordx4 v[15:18], v[15:16], off
	s_waitcnt lgkmcnt(0)
	v_add_f64 v[19:20], v[0:1], -v[4:5]
	v_add_f64 v[25:26], v[2:3], v[6:7]
	v_add_f64 v[2:3], v[2:3], -v[6:7]
	v_add_f64 v[0:1], v[0:1], v[4:5]
	v_mul_f64 v[6:7], v[19:20], 0.5
	v_mul_f64 v[19:20], v[25:26], 0.5
	;; [unrolled: 1-line block ×3, first 2 shown]
	s_waitcnt vmcnt(2)
	v_mul_f64 v[4:5], v[6:7], v[23:24]
	v_fma_f64 v[25:26], v[19:20], v[23:24], v[2:3]
	v_fma_f64 v[2:3], v[19:20], v[23:24], -v[2:3]
	v_fma_f64 v[23:24], v[0:1], 0.5, v[4:5]
	v_fma_f64 v[0:1], v[0:1], 0.5, -v[4:5]
	v_fma_f64 v[4:5], -v[21:22], v[6:7], v[25:26]
	v_fma_f64 v[2:3], -v[21:22], v[6:7], v[2:3]
	v_fma_f64 v[6:7], v[19:20], v[21:22], v[23:24]
	v_fma_f64 v[0:1], -v[19:20], v[21:22], v[0:1]
	ds_write_b64 v27, v[4:5] offset:8
	ds_write_b64 v12, v[2:3] offset:8072
	ds_write_b64 v27, v[6:7]
	ds_write_b64 v12, v[0:1] offset:8064
	ds_read_b128 v[0:3], v14
	ds_read_b128 v[4:7], v12 offset:7168
	s_waitcnt lgkmcnt(0)
	v_add_f64 v[19:20], v[0:1], -v[4:5]
	v_add_f64 v[21:22], v[2:3], v[6:7]
	v_add_f64 v[2:3], v[2:3], -v[6:7]
	v_add_f64 v[0:1], v[0:1], v[4:5]
	v_mul_f64 v[6:7], v[19:20], 0.5
	v_mul_f64 v[19:20], v[21:22], 0.5
	;; [unrolled: 1-line block ×3, first 2 shown]
	s_waitcnt vmcnt(1)
	v_mul_f64 v[4:5], v[6:7], v[10:11]
	v_fma_f64 v[21:22], v[19:20], v[10:11], v[2:3]
	v_fma_f64 v[2:3], v[19:20], v[10:11], -v[2:3]
	v_fma_f64 v[10:11], v[0:1], 0.5, v[4:5]
	v_fma_f64 v[0:1], v[0:1], 0.5, -v[4:5]
	v_fma_f64 v[4:5], -v[8:9], v[6:7], v[21:22]
	v_fma_f64 v[2:3], -v[8:9], v[6:7], v[2:3]
	v_fma_f64 v[6:7], v[19:20], v[8:9], v[10:11]
	v_fma_f64 v[0:1], -v[19:20], v[8:9], v[0:1]
	v_add_nc_u32_e32 v19, v71, v13
	ds_write_b64 v14, v[4:5] offset:8
	ds_write_b64 v12, v[2:3] offset:7176
	ds_write_b64 v14, v[6:7]
	ds_write_b64 v12, v[0:1] offset:7168
	ds_read_b128 v[0:3], v19
	ds_read_b128 v[4:7], v12 offset:6272
	s_waitcnt lgkmcnt(0)
	v_add_f64 v[8:9], v[0:1], -v[4:5]
	v_add_f64 v[10:11], v[2:3], v[6:7]
	v_add_f64 v[2:3], v[2:3], -v[6:7]
	v_add_f64 v[0:1], v[0:1], v[4:5]
	v_mul_f64 v[6:7], v[8:9], 0.5
	v_mul_f64 v[8:9], v[10:11], 0.5
	;; [unrolled: 1-line block ×3, first 2 shown]
	s_waitcnt vmcnt(0)
	v_mul_f64 v[4:5], v[6:7], v[17:18]
	v_fma_f64 v[10:11], v[8:9], v[17:18], v[2:3]
	v_fma_f64 v[2:3], v[8:9], v[17:18], -v[2:3]
	v_fma_f64 v[13:14], v[0:1], 0.5, v[4:5]
	v_fma_f64 v[0:1], v[0:1], 0.5, -v[4:5]
	v_fma_f64 v[4:5], -v[15:16], v[6:7], v[10:11]
	v_fma_f64 v[2:3], -v[15:16], v[6:7], v[2:3]
	v_fma_f64 v[6:7], v[8:9], v[15:16], v[13:14]
	v_fma_f64 v[0:1], -v[8:9], v[15:16], v[0:1]
	ds_write_b64 v19, v[4:5] offset:8
	ds_write_b64 v12, v[2:3] offset:6280
	ds_write_b64 v19, v[6:7]
	ds_write_b64 v12, v[0:1] offset:6272
	s_waitcnt lgkmcnt(0)
	s_barrier
	buffer_gl0_inv
	s_and_saveexec_b32 s0, vcc_lo
	s_cbranch_execz .LBB0_24
; %bb.22:
	v_mul_lo_u32 v2, s3, v60
	v_mul_lo_u32 v3, s2, v61
	v_mad_u64_u32 v[0:1], null, s2, v60, 0
	v_mov_b32_e32 v59, v63
	v_lshlrev_b64 v[10:11], 4, v[56:57]
	v_lshl_add_u32 v28, v58, 4, 0
	v_add_nc_u32_e32 v62, 56, v58
	v_lshlrev_b64 v[12:13], 4, v[58:59]
	v_add3_u32 v1, v1, v3, v2
	ds_read_b128 v[2:5], v28
	ds_read_b128 v[6:9], v28 offset:896
	v_lshlrev_b64 v[18:19], 4, v[62:63]
	v_add_nc_u32_e32 v62, 0x70, v58
	v_lshlrev_b64 v[0:1], 4, v[0:1]
	v_lshlrev_b64 v[20:21], 4, v[62:63]
	v_add_nc_u32_e32 v62, 0xa8, v58
	v_add_co_u32 v0, vcc_lo, s10, v0
	v_add_co_ci_u32_e32 v1, vcc_lo, s11, v1, vcc_lo
	v_lshlrev_b64 v[24:25], 4, v[62:63]
	v_add_co_u32 v0, vcc_lo, v0, v10
	v_add_co_ci_u32_e32 v1, vcc_lo, v1, v11, vcc_lo
	v_add_nc_u32_e32 v62, 0xe0, v58
	v_add_co_u32 v22, vcc_lo, v0, v12
	v_add_co_ci_u32_e32 v23, vcc_lo, v1, v13, vcc_lo
	ds_read_b128 v[10:13], v28 offset:1792
	ds_read_b128 v[14:17], v28 offset:2688
	v_add_co_u32 v18, vcc_lo, v0, v18
	v_add_co_ci_u32_e32 v19, vcc_lo, v1, v19, vcc_lo
	v_add_co_u32 v20, vcc_lo, v0, v20
	v_add_co_ci_u32_e32 v21, vcc_lo, v1, v21, vcc_lo
	;; [unrolled: 2-line block ×3, first 2 shown]
	v_lshlrev_b64 v[26:27], 4, v[62:63]
	v_add_nc_u32_e32 v62, 0x118, v58
	s_waitcnt lgkmcnt(3)
	global_store_dwordx4 v[22:23], v[2:5], off
	s_waitcnt lgkmcnt(2)
	global_store_dwordx4 v[18:19], v[6:9], off
	;; [unrolled: 2-line block ×4, first 2 shown]
	ds_read_b128 v[2:5], v28 offset:3584
	ds_read_b128 v[6:9], v28 offset:4480
	v_lshlrev_b64 v[18:19], 4, v[62:63]
	v_add_nc_u32_e32 v62, 0x150, v58
	ds_read_b128 v[10:13], v28 offset:5376
	ds_read_b128 v[14:17], v28 offset:6272
	v_add_co_u32 v20, vcc_lo, v0, v26
	v_add_co_ci_u32_e32 v21, vcc_lo, v1, v27, vcc_lo
	v_lshlrev_b64 v[22:23], 4, v[62:63]
	v_add_nc_u32_e32 v62, 0x188, v58
	v_add_co_u32 v18, vcc_lo, v0, v18
	v_add_co_ci_u32_e32 v19, vcc_lo, v1, v19, vcc_lo
	v_lshlrev_b64 v[24:25], 4, v[62:63]
	v_add_nc_u32_e32 v62, 0x1c0, v58
	v_add_co_u32 v22, vcc_lo, v0, v22
	v_add_co_ci_u32_e32 v23, vcc_lo, v1, v23, vcc_lo
	s_waitcnt lgkmcnt(3)
	global_store_dwordx4 v[20:21], v[2:5], off
	v_lshlrev_b64 v[2:3], 4, v[62:63]
	v_add_nc_u32_e32 v62, 0x1f8, v58
	v_add_co_u32 v24, vcc_lo, v0, v24
	v_add_co_ci_u32_e32 v25, vcc_lo, v1, v25, vcc_lo
	v_lshlrev_b64 v[20:21], 4, v[62:63]
	v_add_nc_u32_e32 v62, 0x230, v58
	s_waitcnt lgkmcnt(2)
	global_store_dwordx4 v[18:19], v[6:9], off
	s_waitcnt lgkmcnt(1)
	global_store_dwordx4 v[22:23], v[10:13], off
	;; [unrolled: 2-line block ×3, first 2 shown]
	v_add_co_u32 v18, vcc_lo, v0, v2
	v_add_co_ci_u32_e32 v19, vcc_lo, v1, v3, vcc_lo
	ds_read_b128 v[2:5], v28 offset:7168
	ds_read_b128 v[6:9], v28 offset:8064
	;; [unrolled: 1-line block ×4, first 2 shown]
	v_lshlrev_b64 v[22:23], 4, v[62:63]
	v_add_nc_u32_e32 v62, 0x268, v58
	v_add_co_u32 v20, vcc_lo, v0, v20
	v_add_co_ci_u32_e32 v21, vcc_lo, v1, v21, vcc_lo
	v_lshlrev_b64 v[24:25], 4, v[62:63]
	v_add_co_u32 v22, vcc_lo, v0, v22
	v_add_co_ci_u32_e32 v23, vcc_lo, v1, v23, vcc_lo
	v_add_co_u32 v24, vcc_lo, v0, v24
	v_add_co_ci_u32_e32 v25, vcc_lo, v1, v25, vcc_lo
	v_cmp_eq_u32_e32 vcc_lo, 55, v58
	s_waitcnt lgkmcnt(3)
	global_store_dwordx4 v[18:19], v[2:5], off
	s_waitcnt lgkmcnt(2)
	global_store_dwordx4 v[20:21], v[6:9], off
	;; [unrolled: 2-line block ×4, first 2 shown]
	s_and_b32 exec_lo, exec_lo, vcc_lo
	s_cbranch_execz .LBB0_24
; %bb.23:
	v_mov_b32_e32 v2, 0
	v_add_co_u32 v0, vcc_lo, 0x2800, v0
	v_add_co_ci_u32_e32 v1, vcc_lo, 0, v1, vcc_lo
	ds_read_b128 v[2:5], v2 offset:10752
	s_waitcnt lgkmcnt(0)
	global_store_dwordx4 v[0:1], v[2:5], off offset:512
.LBB0_24:
	s_endpgm
	.section	.rodata,"a",@progbits
	.p2align	6, 0x0
	.amdhsa_kernel fft_rtc_fwd_len672_factors_2_2_2_2_2_3_7_wgs_56_tpt_56_halfLds_dp_op_CI_CI_unitstride_sbrr_R2C_dirReg
		.amdhsa_group_segment_fixed_size 0
		.amdhsa_private_segment_fixed_size 0
		.amdhsa_kernarg_size 104
		.amdhsa_user_sgpr_count 6
		.amdhsa_user_sgpr_private_segment_buffer 1
		.amdhsa_user_sgpr_dispatch_ptr 0
		.amdhsa_user_sgpr_queue_ptr 0
		.amdhsa_user_sgpr_kernarg_segment_ptr 1
		.amdhsa_user_sgpr_dispatch_id 0
		.amdhsa_user_sgpr_flat_scratch_init 0
		.amdhsa_user_sgpr_private_segment_size 0
		.amdhsa_wavefront_size32 1
		.amdhsa_uses_dynamic_stack 0
		.amdhsa_system_sgpr_private_segment_wavefront_offset 0
		.amdhsa_system_sgpr_workgroup_id_x 1
		.amdhsa_system_sgpr_workgroup_id_y 0
		.amdhsa_system_sgpr_workgroup_id_z 0
		.amdhsa_system_sgpr_workgroup_info 0
		.amdhsa_system_vgpr_workitem_id 0
		.amdhsa_next_free_vgpr 114
		.amdhsa_next_free_sgpr 28
		.amdhsa_reserve_vcc 1
		.amdhsa_reserve_flat_scratch 0
		.amdhsa_float_round_mode_32 0
		.amdhsa_float_round_mode_16_64 0
		.amdhsa_float_denorm_mode_32 3
		.amdhsa_float_denorm_mode_16_64 3
		.amdhsa_dx10_clamp 1
		.amdhsa_ieee_mode 1
		.amdhsa_fp16_overflow 0
		.amdhsa_workgroup_processor_mode 1
		.amdhsa_memory_ordered 1
		.amdhsa_forward_progress 0
		.amdhsa_shared_vgpr_count 0
		.amdhsa_exception_fp_ieee_invalid_op 0
		.amdhsa_exception_fp_denorm_src 0
		.amdhsa_exception_fp_ieee_div_zero 0
		.amdhsa_exception_fp_ieee_overflow 0
		.amdhsa_exception_fp_ieee_underflow 0
		.amdhsa_exception_fp_ieee_inexact 0
		.amdhsa_exception_int_div_zero 0
	.end_amdhsa_kernel
	.text
.Lfunc_end0:
	.size	fft_rtc_fwd_len672_factors_2_2_2_2_2_3_7_wgs_56_tpt_56_halfLds_dp_op_CI_CI_unitstride_sbrr_R2C_dirReg, .Lfunc_end0-fft_rtc_fwd_len672_factors_2_2_2_2_2_3_7_wgs_56_tpt_56_halfLds_dp_op_CI_CI_unitstride_sbrr_R2C_dirReg
                                        ; -- End function
	.section	.AMDGPU.csdata,"",@progbits
; Kernel info:
; codeLenInByte = 11112
; NumSgprs: 30
; NumVgprs: 114
; ScratchSize: 0
; MemoryBound: 0
; FloatMode: 240
; IeeeMode: 1
; LDSByteSize: 0 bytes/workgroup (compile time only)
; SGPRBlocks: 3
; VGPRBlocks: 14
; NumSGPRsForWavesPerEU: 30
; NumVGPRsForWavesPerEU: 114
; Occupancy: 8
; WaveLimiterHint : 1
; COMPUTE_PGM_RSRC2:SCRATCH_EN: 0
; COMPUTE_PGM_RSRC2:USER_SGPR: 6
; COMPUTE_PGM_RSRC2:TRAP_HANDLER: 0
; COMPUTE_PGM_RSRC2:TGID_X_EN: 1
; COMPUTE_PGM_RSRC2:TGID_Y_EN: 0
; COMPUTE_PGM_RSRC2:TGID_Z_EN: 0
; COMPUTE_PGM_RSRC2:TIDIG_COMP_CNT: 0
	.text
	.p2alignl 6, 3214868480
	.fill 48, 4, 3214868480
	.type	__hip_cuid_acd4e56a86123fa5,@object ; @__hip_cuid_acd4e56a86123fa5
	.section	.bss,"aw",@nobits
	.globl	__hip_cuid_acd4e56a86123fa5
__hip_cuid_acd4e56a86123fa5:
	.byte	0                               ; 0x0
	.size	__hip_cuid_acd4e56a86123fa5, 1

	.ident	"AMD clang version 19.0.0git (https://github.com/RadeonOpenCompute/llvm-project roc-6.4.0 25133 c7fe45cf4b819c5991fe208aaa96edf142730f1d)"
	.section	".note.GNU-stack","",@progbits
	.addrsig
	.addrsig_sym __hip_cuid_acd4e56a86123fa5
	.amdgpu_metadata
---
amdhsa.kernels:
  - .args:
      - .actual_access:  read_only
        .address_space:  global
        .offset:         0
        .size:           8
        .value_kind:     global_buffer
      - .offset:         8
        .size:           8
        .value_kind:     by_value
      - .actual_access:  read_only
        .address_space:  global
        .offset:         16
        .size:           8
        .value_kind:     global_buffer
      - .actual_access:  read_only
        .address_space:  global
        .offset:         24
        .size:           8
        .value_kind:     global_buffer
      - .actual_access:  read_only
        .address_space:  global
        .offset:         32
        .size:           8
        .value_kind:     global_buffer
      - .offset:         40
        .size:           8
        .value_kind:     by_value
      - .actual_access:  read_only
        .address_space:  global
        .offset:         48
        .size:           8
        .value_kind:     global_buffer
      - .actual_access:  read_only
        .address_space:  global
        .offset:         56
        .size:           8
        .value_kind:     global_buffer
      - .offset:         64
        .size:           4
        .value_kind:     by_value
      - .actual_access:  read_only
        .address_space:  global
        .offset:         72
        .size:           8
        .value_kind:     global_buffer
      - .actual_access:  read_only
        .address_space:  global
        .offset:         80
        .size:           8
        .value_kind:     global_buffer
      - .actual_access:  read_only
        .address_space:  global
        .offset:         88
        .size:           8
        .value_kind:     global_buffer
      - .actual_access:  write_only
        .address_space:  global
        .offset:         96
        .size:           8
        .value_kind:     global_buffer
    .group_segment_fixed_size: 0
    .kernarg_segment_align: 8
    .kernarg_segment_size: 104
    .language:       OpenCL C
    .language_version:
      - 2
      - 0
    .max_flat_workgroup_size: 56
    .name:           fft_rtc_fwd_len672_factors_2_2_2_2_2_3_7_wgs_56_tpt_56_halfLds_dp_op_CI_CI_unitstride_sbrr_R2C_dirReg
    .private_segment_fixed_size: 0
    .sgpr_count:     30
    .sgpr_spill_count: 0
    .symbol:         fft_rtc_fwd_len672_factors_2_2_2_2_2_3_7_wgs_56_tpt_56_halfLds_dp_op_CI_CI_unitstride_sbrr_R2C_dirReg.kd
    .uniform_work_group_size: 1
    .uses_dynamic_stack: false
    .vgpr_count:     114
    .vgpr_spill_count: 0
    .wavefront_size: 32
    .workgroup_processor_mode: 1
amdhsa.target:   amdgcn-amd-amdhsa--gfx1030
amdhsa.version:
  - 1
  - 2
...

	.end_amdgpu_metadata
